;; amdgpu-corpus repo=ROCm/aiter kind=harvested arch=n/a opt=n/a

/root/src/amdgpu-assembly/repos/ROCm__aiter/hsa/gfx942/fmha_v3_bwd/bwd_hd128_dq_convert_bf16_rtne.co:	file format elf64-amdgpu

Disassembly of section .text:

0000000000002100 <_ZN5aiter35fmha_bwd_hd128_dq_convert_bf16_rtneE>:
	s_and_b32 s1, s1, 0xffff                                   // 000000002100: 8601FF01 0000FFFF
	s_load_dwordx2 s[12:13], s[0:1], 0x0                       // 000000002108: C0060300 00000000
	s_load_dwordx2 s[16:17], s[0:1], 0x10                      // 000000002110: C0060400 00000010
	s_load_dword s6, s[0:1], 0x20                              // 000000002118: C0020180 00000020
	s_load_dword s8, s[0:1], 0x40                              // 000000002120: C0020200 00000040
	s_load_dword s9, s[0:1], 0x50                              // 000000002128: C0020240 00000050
	s_load_dword s11, s[0:1], 0x70                             // 000000002130: C00202C0 00000070
	s_load_dword s34, s[0:1], 0x90                             // 000000002138: C0020880 00000090
	s_load_dword s7, s[0:1], 0x30                              // 000000002140: C00201C0 00000030
	s_load_dword s10, s[0:1], 0x60                             // 000000002148: C0020280 00000060
	s_load_dword s35, s[0:1], 0x80                             // 000000002150: C00208C0 00000080
	v_lshrrev_b32_e32 v1, 10, v0                               // 000000002158: 2002008A
	v_lshrrev_b32_e32 v2, 10, v1                               // 00000000215C: 2004028A
	v_and_b32_e32 v2, 0x3ff, v2                                // 000000002160: 260404FF 000003FF
	v_and_b32_e32 v1, 0x3ff, v1                                // 000000002168: 260202FF 000003FF
	v_and_b32_e32 v0, 0x3ff, v0                                // 000000002170: 260000FF 000003FF
	v_lshrrev_b32_e32 v3, 6, v0                                // 000000002178: 20060086
	v_and_b32_e32 v0, 63, v0                                   // 00000000217C: 260000BF
	s_mov_b32 s2, s2                                           // 000000002180: BE820002
	s_mov_b32 s3, s3                                           // 000000002184: BE830003
	s_mov_b32 s4, s4                                           // 000000002188: BE840004
	v_readfirstlane_b32 s24, v3                                // 00000000218C: 7E300503
	s_waitcnt lgkmcnt(0)                                       // 000000002190: BF8CC07F
	s_mov_b32 s15, 0x20000                                     // 000000002194: BE8F00FF 00020000
	s_mov_b32 s19, 0x20000                                     // 00000000219C: BE9300FF 00020000
	s_and_b32 s13, s13, 0xffff                                 // 0000000021A4: 860DFF0D 0000FFFF
	s_and_b32 s17, s17, 0xffff                                 // 0000000021AC: 8611FF11 0000FFFF
	s_or_b32 s13, s13, 0x40000                                 // 0000000021B4: 870DFF0D 00040000
	s_or_b32 s17, s17, 0x40000                                 // 0000000021BC: 8711FF11 00040000
	v_mov_b32_e32 v27, 0                                       // 0000000021C4: 7E360280
	s_mov_b32 s20, s12                                         // 0000000021C8: BE94000C
	s_mov_b32 s21, s13                                         // 0000000021CC: BE95000D
	s_mov_b32 s22, s16                                         // 0000000021D0: BE960010
	s_mov_b32 s23, s17                                         // 0000000021D4: BE970011
	s_mov_b32 s38, 0x7060302                                   // 0000000021D8: BEA600FF 07060302
	s_mul_i32 s25, s8, 64                                      // 0000000021E0: 9219C008
	s_mul_i32 s25, s2, s25                                     // 0000000021E4: 92191902
	s_mul_i32 s26, s3, s6                                      // 0000000021E8: 921A0603
	s_add_u32 s28, s25, s26                                    // 0000000021EC: 801C1A19
	s_mul_i32 s26, s35, s8                                     // 0000000021F0: 921A0823
	s_sub_i32 s26, s26, s25                                    // 0000000021F4: 819A191A
	s_mov_b32 s14, s26                                         // 0000000021F8: BE8E001A
	s_add_u32 s12, s28, s20                                    // 0000000021FC: 800C141C
	s_addc_u32 s13, 0, s21                                     // 000000002200: 820D1580
	s_mul_i32 s25, s4, s7                                      // 000000002204: 92190704
	s_mul_hi_u32 s26, s4, s7                                   // 000000002208: 961A0704
	s_and_b32 s26, s26, 0xffff                                 // 00000000220C: 861AFF1A 0000FFFF
	s_add_u32 s12, s12, s25                                    // 000000002214: 800C190C
	s_addc_u32 s13, s13, s26                                   // 000000002218: 820D1A0D
	s_mul_i32 s25, s11, 64                                     // 00000000221C: 9219C00B
	s_mul_i32 s25, s2, s25                                     // 000000002220: 92191902
	s_mul_i32 s26, s3, s9                                      // 000000002224: 921A0903
	s_add_u32 s29, s25, s26                                    // 000000002228: 801D1A19
	s_mul_i32 s26, s35, s11                                    // 00000000222C: 921A0B23
	s_sub_i32 s26, s26, s25                                    // 000000002230: 819A191A
	s_mov_b32 s18, s26                                         // 000000002234: BE92001A
	s_add_u32 s16, s29, s22                                    // 000000002238: 8010161D
	s_addc_u32 s17, 0, s23                                     // 00000000223C: 82111780
	s_mul_i32 s25, s4, s10                                     // 000000002240: 92190A04
	s_mul_hi_u32 s26, s4, s10                                  // 000000002244: 961A0A04
	s_and_b32 s26, s26, 0xffff                                 // 000000002248: 861AFF1A 0000FFFF
	s_add_u32 s16, s16, s25                                    // 000000002250: 80101910
	s_addc_u32 s17, s17, s26                                   // 000000002254: 82111A11
	v_readfirstlane_b32 s24, v3                                // 000000002258: 7E300503
	v_lshrrev_b32_e32 v20, 4, v0                               // 00000000225C: 20280084
	v_mul_i32_i24_e32 v20, s8, v20                             // 000000002260: 0C282808
	v_and_b32_e32 v21, 15, v0                                  // 000000002264: 262A008F
	v_mul_i32_i24_e32 v21, 16, v21                             // 000000002268: 0C2A2A90
	v_add_u32_e32 v21, v20, v21                                // 00000000226C: 682A2B14
	v_mov_b32_e32 v4, v21                                      // 000000002270: 7E080315
	s_mul_i32 s25, 16, s8                                      // 000000002274: 92190890
	s_mul_i32 s25, s24, s25                                    // 000000002278: 92191918
	v_add_u32_e32 v4, s25, v4                                  // 00000000227C: 68080819
	v_mov_b32_e32 v6, 0                                        // 000000002280: 7E0C0280
	v_lshrrev_b32_e32 v20, 5, v0                               // 000000002284: 20280085
	v_lshlrev_b32_e32 v20, 1, v20                              // 000000002288: 24282881
	v_mul_i32_i24_e32 v20, s11, v20                            // 00000000228C: 0C28280B
	v_and_b32_e32 v21, 15, v0                                  // 000000002290: 262A008F
	v_lshlrev_b32_e32 v21, 3, v21                              // 000000002294: 242A2A83
	v_and_b32_e32 v22, 31, v0                                  // 000000002298: 262C009F
	v_lshrrev_b32_e32 v22, 4, v22                              // 00000000229C: 202C2C84
	v_lshlrev_b32_e32 v22, 2, v22                              // 0000000022A0: 242C2C82
	v_add_u32_e32 v6, v20, v6                                  // 0000000022A4: 680C0D14
	v_add_u32_e32 v6, v21, v6                                  // 0000000022A8: 680C0D15
	v_add_u32_e32 v6, v22, v6                                  // 0000000022AC: 680C0D16
	s_mul_i32 s25, 16, s11                                     // 0000000022B0: 92190B90
	s_mul_i32 s25, s24, s25                                    // 0000000022B4: 92191918
	v_add_u32_e32 v6, s25, v6                                  // 0000000022B8: 680C0C19
	v_and_b32_e32 v20, 15, v0                                  // 0000000022BC: 2628008F
	v_lshlrev_b32_e32 v20, 2, v20                              // 0000000022C0: 24282882
	s_sub_i32 s25, s34, 64                                     // 0000000022C4: 8199C022
	v_cmp_lt_u32_e64 s[30:31], v20, s25                        // 0000000022C8: D0C9001E 00003314
	v_and_b32_e32 v20, 15, v0                                  // 0000000022D0: 2628008F
	v_lshrrev_b32_e32 v20, 1, v20                              // 0000000022D4: 20282881
	v_lshlrev_b32_e32 v20, 3, v20                              // 0000000022D8: 24282883
	s_sub_i32 s25, s34, 64                                     // 0000000022DC: 8199C022
	v_cmp_lt_u32_e64 s[32:33], v20, s25                        // 0000000022E0: D0C90020 00003314
	v_mov_b32_e32 v24, 0xffff0000                              // 0000000022E8: 7E3002FF FFFF0000
	v_mov_b32_e32 v25, 0x7fff0000                              // 0000000022F0: 7E3202FF 7FFF0000
	v_mov_b32_e32 v26, 0x7fff                                  // 0000000022F8: 7E3402FF 00007FFF
	s_mul_i32 s25, s8, 0                                       // 000000002300: 92198008
	s_lshl_b32 s25, s25, 2                                     // 000000002304: 8E198219
	v_add_u32_e32 v5, s25, v4                                  // 000000002308: 680A0819
	buffer_load_dwordx4 v[8:11], v5, s[12:15], 0 offen         // 00000000230C: E05C1000 80030805
	v_add_u32_e32 v5, 0x100, v5                                // 000000002314: 680A0AFF 00000100
	s_waitcnt vmcnt(0) expcnt(0) lgkmcnt(0)                    // 00000000231C: BF8C0000
	s_barrier                                                  // 000000002320: BF8A0000
	v_cmp_u_f32_e64 s[36:37], v8, v8                           // 000000002324: D0480024 00021108
	v_bfe_u32 v23, v8, 16, 1                                   // 00000000232C: D1C80017 02052108
	v_add3_u32 v23, v8, v23, v26                               // 000000002334: D1FF0017 046A2F08
	v_cndmask_b32_e64 v20, v23, v25, s[36:37]                  // 00000000233C: D1000014 00923317
	v_lshrrev_b32_e32 v20, 16, v20                             // 000000002344: 20282890
	v_cmp_u_f32_e64 s[36:37], v9, v9                           // 000000002348: D0480024 00021309
	v_bfe_u32 v23, v9, 16, 1                                   // 000000002350: D1C80017 02052109
	v_add3_u32 v23, v9, v23, v26                               // 000000002358: D1FF0017 046A2F09
	v_cndmask_b32_e64 v21, v23, v25, s[36:37]                  // 000000002360: D1000015 00923317
	v_and_or_b32 v16, v21, v24, v20                            // 000000002368: D2010010 04523115
	v_cmp_u_f32_e64 s[36:37], v10, v10                         // 000000002370: D0480024 0002150A
	v_bfe_u32 v23, v10, 16, 1                                  // 000000002378: D1C80017 0205210A
	v_add3_u32 v23, v10, v23, v26                              // 000000002380: D1FF0017 046A2F0A
	v_cndmask_b32_e64 v20, v23, v25, s[36:37]                  // 000000002388: D1000014 00923317
	v_lshrrev_b32_e32 v20, 16, v20                             // 000000002390: 20282890
	v_cmp_u_f32_e64 s[36:37], v11, v11                         // 000000002394: D0480024 0002170B
	v_bfe_u32 v23, v11, 16, 1                                  // 00000000239C: D1C80017 0205210B
	v_add3_u32 v23, v11, v23, v26                              // 0000000023A4: D1FF0017 046A2F0B
	v_cndmask_b32_e64 v21, v23, v25, s[36:37]                  // 0000000023AC: D1000015 00923317
	v_and_or_b32 v17, v21, v24, v20                            // 0000000023B4: D2010011 04523115
	s_nop 1                                                    // 0000000023BC: BF800001
	s_mul_i32 s25, s24, 0x100                                  // 0000000023C0: 9219FF18 00000100
	s_lshl_b32 s25, s25, 2                                     // 0000000023C8: 8E198219
	v_mov_b32_e32 v20, v0                                      // 0000000023CC: 7E280300
	v_lshlrev_b32_e32 v20, 2, v20                              // 0000000023D0: 24282882
	v_add_u32_e64 v20, v20, s25                                // 0000000023D4: D1340014 00003314
	v_add_u32_e32 v21, 0x100, v20                              // 0000000023DC: 682A28FF 00000100
	ds_write_b32 v20, v16                                      // 0000000023E4: D81A0000 00001014
	ds_write_b32 v21, v17                                      // 0000000023EC: D81A0000 00001115
	s_barrier                                                  // 0000000023F4: BF8A0000
	v_lshrrev_b32_e32 v20, 4, v0                               // 0000000023F8: 20280084
	v_and_b32_e64 v21, v20, 1                                  // 0000000023FC: D1130015 00010314
	v_lshrrev_b32_e32 v22, 1, v20                              // 000000002404: 202C2881
	v_lshlrev_b32_e32 v20, 1, v21                              // 000000002408: 24282A81
	v_add_u32_e32 v20, v20, v22                                // 00000000240C: 68282D14
	v_lshlrev_b32_e32 v20, 7, v20                              // 000000002410: 24282887
	v_and_b32_e64 v21, v0, 15                                  // 000000002414: D1130015 00011F00
	v_lshlrev_b32_e32 v21, 2, v21                              // 00000000241C: 242A2A82
	v_add_u32_e32 v20, v21, v20                                // 000000002420: 68282915
	v_add_u32_e64 v20, v20, s25                                // 000000002424: D1340014 00003314
	v_add_u32_e32 v21, 64, v20                                 // 00000000242C: 682A28C0
	ds_read_b32 v16, v20                                       // 000000002430: D86C0000 10000014
	ds_read_b32 v17, v21                                       // 000000002438: D86C0000 11000015
	s_barrier                                                  // 000000002440: BF8A0000
	s_nop 1                                                    // 000000002444: BF800001
	s_mul_i32 s25, s11, 0                                      // 000000002448: 9219800B
	s_lshl_b32 s25, s25, 2                                     // 00000000244C: 8E198219
	s_lshl_b32 s26, 0, 7                                       // 000000002450: 8E1A8780
	v_add_u32_e32 v7, s25, v6                                  // 000000002454: 680E0C19
	v_add_u32_e32 v7, s26, v7                                  // 000000002458: 680E0E1A
	buffer_store_dword v16, v7, s[16:19], 0 offen              // 00000000245C: E0701000 80041007
	v_add_u32_e32 v7, s11, v7                                  // 000000002464: 680E0E0B
	buffer_store_dword v17, v7, s[16:19], 0 offen              // 000000002468: E0701000 80041107
	v_mov_b32_e32 v12, 0                                       // 000000002470: 7E180280
	v_mov_b32_e32 v13, 0                                       // 000000002474: 7E1A0280
	v_mov_b32_e32 v14, 0                                       // 000000002478: 7E1C0280
	v_mov_b32_e32 v15, 0                                       // 00000000247C: 7E1E0280
	s_mov_b64 exec, s[30:31]                                   // 000000002480: BEFE011E
	buffer_load_dwordx4 v[12:15], v5, s[12:15], 0 offen        // 000000002484: E05C1000 80030C05
	s_mov_b64 exec, -1                                         // 00000000248C: BEFE01C1
	v_add_u32_e32 v5, 0x100, v5                                // 000000002490: 680A0AFF 00000100
	s_waitcnt vmcnt(0) expcnt(0) lgkmcnt(0)                    // 000000002498: BF8C0000
	s_barrier                                                  // 00000000249C: BF8A0000
	v_cmp_u_f32_e64 s[36:37], v12, v12                         // 0000000024A0: D0480024 0002190C
	v_bfe_u32 v23, v12, 16, 1                                  // 0000000024A8: D1C80017 0205210C
	v_add3_u32 v23, v12, v23, v26                              // 0000000024B0: D1FF0017 046A2F0C
	v_cndmask_b32_e64 v20, v23, v25, s[36:37]                  // 0000000024B8: D1000014 00923317
	v_lshrrev_b32_e32 v20, 16, v20                             // 0000000024C0: 20282890
	v_cmp_u_f32_e64 s[36:37], v13, v13                         // 0000000024C4: D0480024 00021B0D
	v_bfe_u32 v23, v13, 16, 1                                  // 0000000024CC: D1C80017 0205210D
	v_add3_u32 v23, v13, v23, v26                              // 0000000024D4: D1FF0017 046A2F0D
	v_cndmask_b32_e64 v21, v23, v25, s[36:37]                  // 0000000024DC: D1000015 00923317
	v_and_or_b32 v18, v21, v24, v20                            // 0000000024E4: D2010012 04523115
	v_cmp_u_f32_e64 s[36:37], v14, v14                         // 0000000024EC: D0480024 00021D0E
	v_bfe_u32 v23, v14, 16, 1                                  // 0000000024F4: D1C80017 0205210E
	v_add3_u32 v23, v14, v23, v26                              // 0000000024FC: D1FF0017 046A2F0E
	v_cndmask_b32_e64 v20, v23, v25, s[36:37]                  // 000000002504: D1000014 00923317
	v_lshrrev_b32_e32 v20, 16, v20                             // 00000000250C: 20282890
	v_cmp_u_f32_e64 s[36:37], v15, v15                         // 000000002510: D0480024 00021F0F
	v_bfe_u32 v23, v15, 16, 1                                  // 000000002518: D1C80017 0205210F
	v_add3_u32 v23, v15, v23, v26                              // 000000002520: D1FF0017 046A2F0F
	v_cndmask_b32_e64 v21, v23, v25, s[36:37]                  // 000000002528: D1000015 00923317
	v_and_or_b32 v19, v21, v24, v20                            // 000000002530: D2010013 04523115
	s_nop 1                                                    // 000000002538: BF800001
	s_mul_i32 s25, s24, 0x100                                  // 00000000253C: 9219FF18 00000100
	s_lshl_b32 s25, s25, 2                                     // 000000002544: 8E198219
	v_mov_b32_e32 v20, v0                                      // 000000002548: 7E280300
	v_lshlrev_b32_e32 v20, 2, v20                              // 00000000254C: 24282882
	v_add_u32_e64 v20, v20, s25                                // 000000002550: D1340014 00003314
	v_add_u32_e32 v21, 0x100, v20                              // 000000002558: 682A28FF 00000100
	ds_write_b32 v20, v18                                      // 000000002560: D81A0000 00001214
	ds_write_b32 v21, v19                                      // 000000002568: D81A0000 00001315
	s_barrier                                                  // 000000002570: BF8A0000
	v_lshrrev_b32_e32 v20, 4, v0                               // 000000002574: 20280084
	v_and_b32_e64 v21, v20, 1                                  // 000000002578: D1130015 00010314
	v_lshrrev_b32_e32 v22, 1, v20                              // 000000002580: 202C2881
	v_lshlrev_b32_e32 v20, 1, v21                              // 000000002584: 24282A81
	v_add_u32_e32 v20, v20, v22                                // 000000002588: 68282D14
	v_lshlrev_b32_e32 v20, 7, v20                              // 00000000258C: 24282887
	v_and_b32_e64 v21, v0, 15                                  // 000000002590: D1130015 00011F00
	v_lshlrev_b32_e32 v21, 2, v21                              // 000000002598: 242A2A82
	v_add_u32_e32 v20, v21, v20                                // 00000000259C: 68282915
	v_add_u32_e64 v20, v20, s25                                // 0000000025A0: D1340014 00003314
	v_add_u32_e32 v21, 64, v20                                 // 0000000025A8: 682A28C0
	ds_read_b32 v18, v20                                       // 0000000025AC: D86C0000 12000014
	ds_read_b32 v19, v21                                       // 0000000025B4: D86C0000 13000015
	s_barrier                                                  // 0000000025BC: BF8A0000
	s_nop 1                                                    // 0000000025C0: BF800001
	s_mul_i32 s25, s11, 0                                      // 0000000025C4: 9219800B
	s_lshl_b32 s25, s25, 2                                     // 0000000025C8: 8E198219
	s_lshl_b32 s26, 1, 7                                       // 0000000025CC: 8E1A8781
	v_add_u32_e32 v7, s25, v6                                  // 0000000025D0: 680E0C19
	v_add_u32_e32 v7, s26, v7                                  // 0000000025D4: 680E0E1A
	s_mov_b64 exec, s[32:33]                                   // 0000000025D8: BEFE0120
	buffer_store_dword v18, v7, s[16:19], 0 offen              // 0000000025DC: E0701000 80041207
	v_add_u32_e32 v7, s11, v7                                  // 0000000025E4: 680E0E0B
	buffer_store_dword v19, v7, s[16:19], 0 offen              // 0000000025E8: E0701000 80041307
	s_mov_b64 exec, -1                                         // 0000000025F0: BEFE01C1
	s_mul_i32 s25, s8, 1                                       // 0000000025F4: 92198108
	s_lshl_b32 s25, s25, 2                                     // 0000000025F8: 8E198219
	v_add_u32_e32 v5, s25, v4                                  // 0000000025FC: 680A0819
	buffer_load_dwordx4 v[8:11], v5, s[12:15], 0 offen         // 000000002600: E05C1000 80030805
	v_add_u32_e32 v5, 0x100, v5                                // 000000002608: 680A0AFF 00000100
	s_waitcnt vmcnt(0) expcnt(0) lgkmcnt(0)                    // 000000002610: BF8C0000
	s_barrier                                                  // 000000002614: BF8A0000
	v_cmp_u_f32_e64 s[36:37], v8, v8                           // 000000002618: D0480024 00021108
	v_bfe_u32 v23, v8, 16, 1                                   // 000000002620: D1C80017 02052108
	v_add3_u32 v23, v8, v23, v26                               // 000000002628: D1FF0017 046A2F08
	v_cndmask_b32_e64 v20, v23, v25, s[36:37]                  // 000000002630: D1000014 00923317
	v_lshrrev_b32_e32 v20, 16, v20                             // 000000002638: 20282890
	v_cmp_u_f32_e64 s[36:37], v9, v9                           // 00000000263C: D0480024 00021309
	v_bfe_u32 v23, v9, 16, 1                                   // 000000002644: D1C80017 02052109
	v_add3_u32 v23, v9, v23, v26                               // 00000000264C: D1FF0017 046A2F09
	v_cndmask_b32_e64 v21, v23, v25, s[36:37]                  // 000000002654: D1000015 00923317
	v_and_or_b32 v16, v21, v24, v20                            // 00000000265C: D2010010 04523115
	v_cmp_u_f32_e64 s[36:37], v10, v10                         // 000000002664: D0480024 0002150A
	v_bfe_u32 v23, v10, 16, 1                                  // 00000000266C: D1C80017 0205210A
	v_add3_u32 v23, v10, v23, v26                              // 000000002674: D1FF0017 046A2F0A
	v_cndmask_b32_e64 v20, v23, v25, s[36:37]                  // 00000000267C: D1000014 00923317
	v_lshrrev_b32_e32 v20, 16, v20                             // 000000002684: 20282890
	v_cmp_u_f32_e64 s[36:37], v11, v11                         // 000000002688: D0480024 0002170B
	v_bfe_u32 v23, v11, 16, 1                                  // 000000002690: D1C80017 0205210B
	v_add3_u32 v23, v11, v23, v26                              // 000000002698: D1FF0017 046A2F0B
	v_cndmask_b32_e64 v21, v23, v25, s[36:37]                  // 0000000026A0: D1000015 00923317
	v_and_or_b32 v17, v21, v24, v20                            // 0000000026A8: D2010011 04523115
	s_nop 1                                                    // 0000000026B0: BF800001
	s_mul_i32 s25, s24, 0x100                                  // 0000000026B4: 9219FF18 00000100
	s_lshl_b32 s25, s25, 2                                     // 0000000026BC: 8E198219
	v_mov_b32_e32 v20, v0                                      // 0000000026C0: 7E280300
	v_lshlrev_b32_e32 v20, 2, v20                              // 0000000026C4: 24282882
	v_add_u32_e64 v20, v20, s25                                // 0000000026C8: D1340014 00003314
	v_add_u32_e32 v21, 0x100, v20                              // 0000000026D0: 682A28FF 00000100
	ds_write_b32 v20, v16                                      // 0000000026D8: D81A0000 00001014
	ds_write_b32 v21, v17                                      // 0000000026E0: D81A0000 00001115
	s_barrier                                                  // 0000000026E8: BF8A0000
	v_lshrrev_b32_e32 v20, 4, v0                               // 0000000026EC: 20280084
	v_and_b32_e64 v21, v20, 1                                  // 0000000026F0: D1130015 00010314
	v_lshrrev_b32_e32 v22, 1, v20                              // 0000000026F8: 202C2881
	v_lshlrev_b32_e32 v20, 1, v21                              // 0000000026FC: 24282A81
	v_add_u32_e32 v20, v20, v22                                // 000000002700: 68282D14
	v_lshlrev_b32_e32 v20, 7, v20                              // 000000002704: 24282887
	v_and_b32_e64 v21, v0, 15                                  // 000000002708: D1130015 00011F00
	v_lshlrev_b32_e32 v21, 2, v21                              // 000000002710: 242A2A82
	v_add_u32_e32 v20, v21, v20                                // 000000002714: 68282915
	v_add_u32_e64 v20, v20, s25                                // 000000002718: D1340014 00003314
	v_add_u32_e32 v21, 64, v20                                 // 000000002720: 682A28C0
	ds_read_b32 v16, v20                                       // 000000002724: D86C0000 10000014
	ds_read_b32 v17, v21                                       // 00000000272C: D86C0000 11000015
	s_barrier                                                  // 000000002734: BF8A0000
	s_nop 1                                                    // 000000002738: BF800001
	s_mul_i32 s25, s11, 1                                      // 00000000273C: 9219810B
	s_lshl_b32 s25, s25, 2                                     // 000000002740: 8E198219
	s_lshl_b32 s26, 0, 7                                       // 000000002744: 8E1A8780
	v_add_u32_e32 v7, s25, v6                                  // 000000002748: 680E0C19
	v_add_u32_e32 v7, s26, v7                                  // 00000000274C: 680E0E1A
	buffer_store_dword v16, v7, s[16:19], 0 offen              // 000000002750: E0701000 80041007
	v_add_u32_e32 v7, s11, v7                                  // 000000002758: 680E0E0B
	buffer_store_dword v17, v7, s[16:19], 0 offen              // 00000000275C: E0701000 80041107
	v_mov_b32_e32 v12, 0                                       // 000000002764: 7E180280
	v_mov_b32_e32 v13, 0                                       // 000000002768: 7E1A0280
	v_mov_b32_e32 v14, 0                                       // 00000000276C: 7E1C0280
	v_mov_b32_e32 v15, 0                                       // 000000002770: 7E1E0280
	s_mov_b64 exec, s[30:31]                                   // 000000002774: BEFE011E
	buffer_load_dwordx4 v[12:15], v5, s[12:15], 0 offen        // 000000002778: E05C1000 80030C05
	s_mov_b64 exec, -1                                         // 000000002780: BEFE01C1
	v_add_u32_e32 v5, 0x100, v5                                // 000000002784: 680A0AFF 00000100
	s_waitcnt vmcnt(0) expcnt(0) lgkmcnt(0)                    // 00000000278C: BF8C0000
	s_barrier                                                  // 000000002790: BF8A0000
	v_cmp_u_f32_e64 s[36:37], v12, v12                         // 000000002794: D0480024 0002190C
	v_bfe_u32 v23, v12, 16, 1                                  // 00000000279C: D1C80017 0205210C
	v_add3_u32 v23, v12, v23, v26                              // 0000000027A4: D1FF0017 046A2F0C
	v_cndmask_b32_e64 v20, v23, v25, s[36:37]                  // 0000000027AC: D1000014 00923317
	v_lshrrev_b32_e32 v20, 16, v20                             // 0000000027B4: 20282890
	v_cmp_u_f32_e64 s[36:37], v13, v13                         // 0000000027B8: D0480024 00021B0D
	v_bfe_u32 v23, v13, 16, 1                                  // 0000000027C0: D1C80017 0205210D
	v_add3_u32 v23, v13, v23, v26                              // 0000000027C8: D1FF0017 046A2F0D
	v_cndmask_b32_e64 v21, v23, v25, s[36:37]                  // 0000000027D0: D1000015 00923317
	v_and_or_b32 v18, v21, v24, v20                            // 0000000027D8: D2010012 04523115
	v_cmp_u_f32_e64 s[36:37], v14, v14                         // 0000000027E0: D0480024 00021D0E
	v_bfe_u32 v23, v14, 16, 1                                  // 0000000027E8: D1C80017 0205210E
	v_add3_u32 v23, v14, v23, v26                              // 0000000027F0: D1FF0017 046A2F0E
	v_cndmask_b32_e64 v20, v23, v25, s[36:37]                  // 0000000027F8: D1000014 00923317
	v_lshrrev_b32_e32 v20, 16, v20                             // 000000002800: 20282890
	v_cmp_u_f32_e64 s[36:37], v15, v15                         // 000000002804: D0480024 00021F0F
	v_bfe_u32 v23, v15, 16, 1                                  // 00000000280C: D1C80017 0205210F
	v_add3_u32 v23, v15, v23, v26                              // 000000002814: D1FF0017 046A2F0F
	v_cndmask_b32_e64 v21, v23, v25, s[36:37]                  // 00000000281C: D1000015 00923317
	v_and_or_b32 v19, v21, v24, v20                            // 000000002824: D2010013 04523115
	s_nop 1                                                    // 00000000282C: BF800001
	s_mul_i32 s25, s24, 0x100                                  // 000000002830: 9219FF18 00000100
	s_lshl_b32 s25, s25, 2                                     // 000000002838: 8E198219
	v_mov_b32_e32 v20, v0                                      // 00000000283C: 7E280300
	v_lshlrev_b32_e32 v20, 2, v20                              // 000000002840: 24282882
	v_add_u32_e64 v20, v20, s25                                // 000000002844: D1340014 00003314
	v_add_u32_e32 v21, 0x100, v20                              // 00000000284C: 682A28FF 00000100
	ds_write_b32 v20, v18                                      // 000000002854: D81A0000 00001214
	ds_write_b32 v21, v19                                      // 00000000285C: D81A0000 00001315
	s_barrier                                                  // 000000002864: BF8A0000
	v_lshrrev_b32_e32 v20, 4, v0                               // 000000002868: 20280084
	v_and_b32_e64 v21, v20, 1                                  // 00000000286C: D1130015 00010314
	v_lshrrev_b32_e32 v22, 1, v20                              // 000000002874: 202C2881
	v_lshlrev_b32_e32 v20, 1, v21                              // 000000002878: 24282A81
	v_add_u32_e32 v20, v20, v22                                // 00000000287C: 68282D14
	v_lshlrev_b32_e32 v20, 7, v20                              // 000000002880: 24282887
	v_and_b32_e64 v21, v0, 15                                  // 000000002884: D1130015 00011F00
	v_lshlrev_b32_e32 v21, 2, v21                              // 00000000288C: 242A2A82
	v_add_u32_e32 v20, v21, v20                                // 000000002890: 68282915
	v_add_u32_e64 v20, v20, s25                                // 000000002894: D1340014 00003314
	v_add_u32_e32 v21, 64, v20                                 // 00000000289C: 682A28C0
	ds_read_b32 v18, v20                                       // 0000000028A0: D86C0000 12000014
	ds_read_b32 v19, v21                                       // 0000000028A8: D86C0000 13000015
	s_barrier                                                  // 0000000028B0: BF8A0000
	s_nop 1                                                    // 0000000028B4: BF800001
	s_mul_i32 s25, s11, 1                                      // 0000000028B8: 9219810B
	s_lshl_b32 s25, s25, 2                                     // 0000000028BC: 8E198219
	s_lshl_b32 s26, 1, 7                                       // 0000000028C0: 8E1A8781
	v_add_u32_e32 v7, s25, v6                                  // 0000000028C4: 680E0C19
	v_add_u32_e32 v7, s26, v7                                  // 0000000028C8: 680E0E1A
	s_mov_b64 exec, s[32:33]                                   // 0000000028CC: BEFE0120
	buffer_store_dword v18, v7, s[16:19], 0 offen              // 0000000028D0: E0701000 80041207
	v_add_u32_e32 v7, s11, v7                                  // 0000000028D8: 680E0E0B
	buffer_store_dword v19, v7, s[16:19], 0 offen              // 0000000028DC: E0701000 80041307
	s_mov_b64 exec, -1                                         // 0000000028E4: BEFE01C1
	s_mul_i32 s25, s8, 2                                       // 0000000028E8: 92198208
	s_lshl_b32 s25, s25, 2                                     // 0000000028EC: 8E198219
	v_add_u32_e32 v5, s25, v4                                  // 0000000028F0: 680A0819
	buffer_load_dwordx4 v[8:11], v5, s[12:15], 0 offen         // 0000000028F4: E05C1000 80030805
	v_add_u32_e32 v5, 0x100, v5                                // 0000000028FC: 680A0AFF 00000100
	s_waitcnt vmcnt(0) expcnt(0) lgkmcnt(0)                    // 000000002904: BF8C0000
	s_barrier                                                  // 000000002908: BF8A0000
	v_cmp_u_f32_e64 s[36:37], v8, v8                           // 00000000290C: D0480024 00021108
	v_bfe_u32 v23, v8, 16, 1                                   // 000000002914: D1C80017 02052108
	v_add3_u32 v23, v8, v23, v26                               // 00000000291C: D1FF0017 046A2F08
	v_cndmask_b32_e64 v20, v23, v25, s[36:37]                  // 000000002924: D1000014 00923317
	v_lshrrev_b32_e32 v20, 16, v20                             // 00000000292C: 20282890
	v_cmp_u_f32_e64 s[36:37], v9, v9                           // 000000002930: D0480024 00021309
	v_bfe_u32 v23, v9, 16, 1                                   // 000000002938: D1C80017 02052109
	v_add3_u32 v23, v9, v23, v26                               // 000000002940: D1FF0017 046A2F09
	v_cndmask_b32_e64 v21, v23, v25, s[36:37]                  // 000000002948: D1000015 00923317
	v_and_or_b32 v16, v21, v24, v20                            // 000000002950: D2010010 04523115
	v_cmp_u_f32_e64 s[36:37], v10, v10                         // 000000002958: D0480024 0002150A
	v_bfe_u32 v23, v10, 16, 1                                  // 000000002960: D1C80017 0205210A
	v_add3_u32 v23, v10, v23, v26                              // 000000002968: D1FF0017 046A2F0A
	v_cndmask_b32_e64 v20, v23, v25, s[36:37]                  // 000000002970: D1000014 00923317
	v_lshrrev_b32_e32 v20, 16, v20                             // 000000002978: 20282890
	v_cmp_u_f32_e64 s[36:37], v11, v11                         // 00000000297C: D0480024 0002170B
	v_bfe_u32 v23, v11, 16, 1                                  // 000000002984: D1C80017 0205210B
	v_add3_u32 v23, v11, v23, v26                              // 00000000298C: D1FF0017 046A2F0B
	v_cndmask_b32_e64 v21, v23, v25, s[36:37]                  // 000000002994: D1000015 00923317
	v_and_or_b32 v17, v21, v24, v20                            // 00000000299C: D2010011 04523115
	s_nop 1                                                    // 0000000029A4: BF800001
	s_mul_i32 s25, s24, 0x100                                  // 0000000029A8: 9219FF18 00000100
	s_lshl_b32 s25, s25, 2                                     // 0000000029B0: 8E198219
	v_mov_b32_e32 v20, v0                                      // 0000000029B4: 7E280300
	v_lshlrev_b32_e32 v20, 2, v20                              // 0000000029B8: 24282882
	v_add_u32_e64 v20, v20, s25                                // 0000000029BC: D1340014 00003314
	v_add_u32_e32 v21, 0x100, v20                              // 0000000029C4: 682A28FF 00000100
	ds_write_b32 v20, v16                                      // 0000000029CC: D81A0000 00001014
	ds_write_b32 v21, v17                                      // 0000000029D4: D81A0000 00001115
	s_barrier                                                  // 0000000029DC: BF8A0000
	v_lshrrev_b32_e32 v20, 4, v0                               // 0000000029E0: 20280084
	v_and_b32_e64 v21, v20, 1                                  // 0000000029E4: D1130015 00010314
	v_lshrrev_b32_e32 v22, 1, v20                              // 0000000029EC: 202C2881
	v_lshlrev_b32_e32 v20, 1, v21                              // 0000000029F0: 24282A81
	v_add_u32_e32 v20, v20, v22                                // 0000000029F4: 68282D14
	v_lshlrev_b32_e32 v20, 7, v20                              // 0000000029F8: 24282887
	v_and_b32_e64 v21, v0, 15                                  // 0000000029FC: D1130015 00011F00
	v_lshlrev_b32_e32 v21, 2, v21                              // 000000002A04: 242A2A82
	v_add_u32_e32 v20, v21, v20                                // 000000002A08: 68282915
	v_add_u32_e64 v20, v20, s25                                // 000000002A0C: D1340014 00003314
	v_add_u32_e32 v21, 64, v20                                 // 000000002A14: 682A28C0
	ds_read_b32 v16, v20                                       // 000000002A18: D86C0000 10000014
	ds_read_b32 v17, v21                                       // 000000002A20: D86C0000 11000015
	s_barrier                                                  // 000000002A28: BF8A0000
	s_nop 1                                                    // 000000002A2C: BF800001
	s_mul_i32 s25, s11, 2                                      // 000000002A30: 9219820B
	s_lshl_b32 s25, s25, 2                                     // 000000002A34: 8E198219
	s_lshl_b32 s26, 0, 7                                       // 000000002A38: 8E1A8780
	v_add_u32_e32 v7, s25, v6                                  // 000000002A3C: 680E0C19
	v_add_u32_e32 v7, s26, v7                                  // 000000002A40: 680E0E1A
	buffer_store_dword v16, v7, s[16:19], 0 offen              // 000000002A44: E0701000 80041007
	v_add_u32_e32 v7, s11, v7                                  // 000000002A4C: 680E0E0B
	buffer_store_dword v17, v7, s[16:19], 0 offen              // 000000002A50: E0701000 80041107
	v_mov_b32_e32 v12, 0                                       // 000000002A58: 7E180280
	v_mov_b32_e32 v13, 0                                       // 000000002A5C: 7E1A0280
	v_mov_b32_e32 v14, 0                                       // 000000002A60: 7E1C0280
	v_mov_b32_e32 v15, 0                                       // 000000002A64: 7E1E0280
	s_mov_b64 exec, s[30:31]                                   // 000000002A68: BEFE011E
	buffer_load_dwordx4 v[12:15], v5, s[12:15], 0 offen        // 000000002A6C: E05C1000 80030C05
	s_mov_b64 exec, -1                                         // 000000002A74: BEFE01C1
	v_add_u32_e32 v5, 0x100, v5                                // 000000002A78: 680A0AFF 00000100
	s_waitcnt vmcnt(0) expcnt(0) lgkmcnt(0)                    // 000000002A80: BF8C0000
	s_barrier                                                  // 000000002A84: BF8A0000
	v_cmp_u_f32_e64 s[36:37], v12, v12                         // 000000002A88: D0480024 0002190C
	v_bfe_u32 v23, v12, 16, 1                                  // 000000002A90: D1C80017 0205210C
	v_add3_u32 v23, v12, v23, v26                              // 000000002A98: D1FF0017 046A2F0C
	v_cndmask_b32_e64 v20, v23, v25, s[36:37]                  // 000000002AA0: D1000014 00923317
	v_lshrrev_b32_e32 v20, 16, v20                             // 000000002AA8: 20282890
	v_cmp_u_f32_e64 s[36:37], v13, v13                         // 000000002AAC: D0480024 00021B0D
	v_bfe_u32 v23, v13, 16, 1                                  // 000000002AB4: D1C80017 0205210D
	v_add3_u32 v23, v13, v23, v26                              // 000000002ABC: D1FF0017 046A2F0D
	v_cndmask_b32_e64 v21, v23, v25, s[36:37]                  // 000000002AC4: D1000015 00923317
	v_and_or_b32 v18, v21, v24, v20                            // 000000002ACC: D2010012 04523115
	v_cmp_u_f32_e64 s[36:37], v14, v14                         // 000000002AD4: D0480024 00021D0E
	v_bfe_u32 v23, v14, 16, 1                                  // 000000002ADC: D1C80017 0205210E
	v_add3_u32 v23, v14, v23, v26                              // 000000002AE4: D1FF0017 046A2F0E
	v_cndmask_b32_e64 v20, v23, v25, s[36:37]                  // 000000002AEC: D1000014 00923317
	v_lshrrev_b32_e32 v20, 16, v20                             // 000000002AF4: 20282890
	v_cmp_u_f32_e64 s[36:37], v15, v15                         // 000000002AF8: D0480024 00021F0F
	v_bfe_u32 v23, v15, 16, 1                                  // 000000002B00: D1C80017 0205210F
	v_add3_u32 v23, v15, v23, v26                              // 000000002B08: D1FF0017 046A2F0F
	v_cndmask_b32_e64 v21, v23, v25, s[36:37]                  // 000000002B10: D1000015 00923317
	v_and_or_b32 v19, v21, v24, v20                            // 000000002B18: D2010013 04523115
	s_nop 1                                                    // 000000002B20: BF800001
	s_mul_i32 s25, s24, 0x100                                  // 000000002B24: 9219FF18 00000100
	s_lshl_b32 s25, s25, 2                                     // 000000002B2C: 8E198219
	v_mov_b32_e32 v20, v0                                      // 000000002B30: 7E280300
	v_lshlrev_b32_e32 v20, 2, v20                              // 000000002B34: 24282882
	v_add_u32_e64 v20, v20, s25                                // 000000002B38: D1340014 00003314
	v_add_u32_e32 v21, 0x100, v20                              // 000000002B40: 682A28FF 00000100
	ds_write_b32 v20, v18                                      // 000000002B48: D81A0000 00001214
	ds_write_b32 v21, v19                                      // 000000002B50: D81A0000 00001315
	s_barrier                                                  // 000000002B58: BF8A0000
	v_lshrrev_b32_e32 v20, 4, v0                               // 000000002B5C: 20280084
	v_and_b32_e64 v21, v20, 1                                  // 000000002B60: D1130015 00010314
	v_lshrrev_b32_e32 v22, 1, v20                              // 000000002B68: 202C2881
	v_lshlrev_b32_e32 v20, 1, v21                              // 000000002B6C: 24282A81
	v_add_u32_e32 v20, v20, v22                                // 000000002B70: 68282D14
	v_lshlrev_b32_e32 v20, 7, v20                              // 000000002B74: 24282887
	v_and_b32_e64 v21, v0, 15                                  // 000000002B78: D1130015 00011F00
	v_lshlrev_b32_e32 v21, 2, v21                              // 000000002B80: 242A2A82
	v_add_u32_e32 v20, v21, v20                                // 000000002B84: 68282915
	v_add_u32_e64 v20, v20, s25                                // 000000002B88: D1340014 00003314
	v_add_u32_e32 v21, 64, v20                                 // 000000002B90: 682A28C0
	ds_read_b32 v18, v20                                       // 000000002B94: D86C0000 12000014
	ds_read_b32 v19, v21                                       // 000000002B9C: D86C0000 13000015
	s_barrier                                                  // 000000002BA4: BF8A0000
	s_nop 1                                                    // 000000002BA8: BF800001
	s_mul_i32 s25, s11, 2                                      // 000000002BAC: 9219820B
	s_lshl_b32 s25, s25, 2                                     // 000000002BB0: 8E198219
	s_lshl_b32 s26, 1, 7                                       // 000000002BB4: 8E1A8781
	v_add_u32_e32 v7, s25, v6                                  // 000000002BB8: 680E0C19
	v_add_u32_e32 v7, s26, v7                                  // 000000002BBC: 680E0E1A
	s_mov_b64 exec, s[32:33]                                   // 000000002BC0: BEFE0120
	buffer_store_dword v18, v7, s[16:19], 0 offen              // 000000002BC4: E0701000 80041207
	v_add_u32_e32 v7, s11, v7                                  // 000000002BCC: 680E0E0B
	buffer_store_dword v19, v7, s[16:19], 0 offen              // 000000002BD0: E0701000 80041307
	s_mov_b64 exec, -1                                         // 000000002BD8: BEFE01C1
	s_mul_i32 s25, s8, 3                                       // 000000002BDC: 92198308
	s_lshl_b32 s25, s25, 2                                     // 000000002BE0: 8E198219
	v_add_u32_e32 v5, s25, v4                                  // 000000002BE4: 680A0819
	buffer_load_dwordx4 v[8:11], v5, s[12:15], 0 offen         // 000000002BE8: E05C1000 80030805
	v_add_u32_e32 v5, 0x100, v5                                // 000000002BF0: 680A0AFF 00000100
	s_waitcnt vmcnt(0) expcnt(0) lgkmcnt(0)                    // 000000002BF8: BF8C0000
	s_barrier                                                  // 000000002BFC: BF8A0000
	v_cmp_u_f32_e64 s[36:37], v8, v8                           // 000000002C00: D0480024 00021108
	v_bfe_u32 v23, v8, 16, 1                                   // 000000002C08: D1C80017 02052108
	v_add3_u32 v23, v8, v23, v26                               // 000000002C10: D1FF0017 046A2F08
	v_cndmask_b32_e64 v20, v23, v25, s[36:37]                  // 000000002C18: D1000014 00923317
	v_lshrrev_b32_e32 v20, 16, v20                             // 000000002C20: 20282890
	v_cmp_u_f32_e64 s[36:37], v9, v9                           // 000000002C24: D0480024 00021309
	v_bfe_u32 v23, v9, 16, 1                                   // 000000002C2C: D1C80017 02052109
	v_add3_u32 v23, v9, v23, v26                               // 000000002C34: D1FF0017 046A2F09
	v_cndmask_b32_e64 v21, v23, v25, s[36:37]                  // 000000002C3C: D1000015 00923317
	v_and_or_b32 v16, v21, v24, v20                            // 000000002C44: D2010010 04523115
	v_cmp_u_f32_e64 s[36:37], v10, v10                         // 000000002C4C: D0480024 0002150A
	v_bfe_u32 v23, v10, 16, 1                                  // 000000002C54: D1C80017 0205210A
	v_add3_u32 v23, v10, v23, v26                              // 000000002C5C: D1FF0017 046A2F0A
	v_cndmask_b32_e64 v20, v23, v25, s[36:37]                  // 000000002C64: D1000014 00923317
	v_lshrrev_b32_e32 v20, 16, v20                             // 000000002C6C: 20282890
	v_cmp_u_f32_e64 s[36:37], v11, v11                         // 000000002C70: D0480024 0002170B
	v_bfe_u32 v23, v11, 16, 1                                  // 000000002C78: D1C80017 0205210B
	v_add3_u32 v23, v11, v23, v26                              // 000000002C80: D1FF0017 046A2F0B
	v_cndmask_b32_e64 v21, v23, v25, s[36:37]                  // 000000002C88: D1000015 00923317
	v_and_or_b32 v17, v21, v24, v20                            // 000000002C90: D2010011 04523115
	s_nop 1                                                    // 000000002C98: BF800001
	s_mul_i32 s25, s24, 0x100                                  // 000000002C9C: 9219FF18 00000100
	s_lshl_b32 s25, s25, 2                                     // 000000002CA4: 8E198219
	v_mov_b32_e32 v20, v0                                      // 000000002CA8: 7E280300
	v_lshlrev_b32_e32 v20, 2, v20                              // 000000002CAC: 24282882
	v_add_u32_e64 v20, v20, s25                                // 000000002CB0: D1340014 00003314
	v_add_u32_e32 v21, 0x100, v20                              // 000000002CB8: 682A28FF 00000100
	ds_write_b32 v20, v16                                      // 000000002CC0: D81A0000 00001014
	ds_write_b32 v21, v17                                      // 000000002CC8: D81A0000 00001115
	s_barrier                                                  // 000000002CD0: BF8A0000
	v_lshrrev_b32_e32 v20, 4, v0                               // 000000002CD4: 20280084
	v_and_b32_e64 v21, v20, 1                                  // 000000002CD8: D1130015 00010314
	v_lshrrev_b32_e32 v22, 1, v20                              // 000000002CE0: 202C2881
	v_lshlrev_b32_e32 v20, 1, v21                              // 000000002CE4: 24282A81
	v_add_u32_e32 v20, v20, v22                                // 000000002CE8: 68282D14
	v_lshlrev_b32_e32 v20, 7, v20                              // 000000002CEC: 24282887
	v_and_b32_e64 v21, v0, 15                                  // 000000002CF0: D1130015 00011F00
	v_lshlrev_b32_e32 v21, 2, v21                              // 000000002CF8: 242A2A82
	v_add_u32_e32 v20, v21, v20                                // 000000002CFC: 68282915
	v_add_u32_e64 v20, v20, s25                                // 000000002D00: D1340014 00003314
	v_add_u32_e32 v21, 64, v20                                 // 000000002D08: 682A28C0
	ds_read_b32 v16, v20                                       // 000000002D0C: D86C0000 10000014
	ds_read_b32 v17, v21                                       // 000000002D14: D86C0000 11000015
	s_barrier                                                  // 000000002D1C: BF8A0000
	s_nop 1                                                    // 000000002D20: BF800001
	s_mul_i32 s25, s11, 3                                      // 000000002D24: 9219830B
	s_lshl_b32 s25, s25, 2                                     // 000000002D28: 8E198219
	s_lshl_b32 s26, 0, 7                                       // 000000002D2C: 8E1A8780
	v_add_u32_e32 v7, s25, v6                                  // 000000002D30: 680E0C19
	v_add_u32_e32 v7, s26, v7                                  // 000000002D34: 680E0E1A
	buffer_store_dword v16, v7, s[16:19], 0 offen              // 000000002D38: E0701000 80041007
	v_add_u32_e32 v7, s11, v7                                  // 000000002D40: 680E0E0B
	buffer_store_dword v17, v7, s[16:19], 0 offen              // 000000002D44: E0701000 80041107
	v_mov_b32_e32 v12, 0                                       // 000000002D4C: 7E180280
	v_mov_b32_e32 v13, 0                                       // 000000002D50: 7E1A0280
	v_mov_b32_e32 v14, 0                                       // 000000002D54: 7E1C0280
	v_mov_b32_e32 v15, 0                                       // 000000002D58: 7E1E0280
	s_mov_b64 exec, s[30:31]                                   // 000000002D5C: BEFE011E
	buffer_load_dwordx4 v[12:15], v5, s[12:15], 0 offen        // 000000002D60: E05C1000 80030C05
	s_mov_b64 exec, -1                                         // 000000002D68: BEFE01C1
	v_add_u32_e32 v5, 0x100, v5                                // 000000002D6C: 680A0AFF 00000100
	s_waitcnt vmcnt(0) expcnt(0) lgkmcnt(0)                    // 000000002D74: BF8C0000
	s_barrier                                                  // 000000002D78: BF8A0000
	v_cmp_u_f32_e64 s[36:37], v12, v12                         // 000000002D7C: D0480024 0002190C
	v_bfe_u32 v23, v12, 16, 1                                  // 000000002D84: D1C80017 0205210C
	v_add3_u32 v23, v12, v23, v26                              // 000000002D8C: D1FF0017 046A2F0C
	v_cndmask_b32_e64 v20, v23, v25, s[36:37]                  // 000000002D94: D1000014 00923317
	v_lshrrev_b32_e32 v20, 16, v20                             // 000000002D9C: 20282890
	v_cmp_u_f32_e64 s[36:37], v13, v13                         // 000000002DA0: D0480024 00021B0D
	v_bfe_u32 v23, v13, 16, 1                                  // 000000002DA8: D1C80017 0205210D
	v_add3_u32 v23, v13, v23, v26                              // 000000002DB0: D1FF0017 046A2F0D
	v_cndmask_b32_e64 v21, v23, v25, s[36:37]                  // 000000002DB8: D1000015 00923317
	v_and_or_b32 v18, v21, v24, v20                            // 000000002DC0: D2010012 04523115
	v_cmp_u_f32_e64 s[36:37], v14, v14                         // 000000002DC8: D0480024 00021D0E
	v_bfe_u32 v23, v14, 16, 1                                  // 000000002DD0: D1C80017 0205210E
	v_add3_u32 v23, v14, v23, v26                              // 000000002DD8: D1FF0017 046A2F0E
	v_cndmask_b32_e64 v20, v23, v25, s[36:37]                  // 000000002DE0: D1000014 00923317
	v_lshrrev_b32_e32 v20, 16, v20                             // 000000002DE8: 20282890
	v_cmp_u_f32_e64 s[36:37], v15, v15                         // 000000002DEC: D0480024 00021F0F
	v_bfe_u32 v23, v15, 16, 1                                  // 000000002DF4: D1C80017 0205210F
	v_add3_u32 v23, v15, v23, v26                              // 000000002DFC: D1FF0017 046A2F0F
	v_cndmask_b32_e64 v21, v23, v25, s[36:37]                  // 000000002E04: D1000015 00923317
	v_and_or_b32 v19, v21, v24, v20                            // 000000002E0C: D2010013 04523115
	s_nop 1                                                    // 000000002E14: BF800001
	s_mul_i32 s25, s24, 0x100                                  // 000000002E18: 9219FF18 00000100
	s_lshl_b32 s25, s25, 2                                     // 000000002E20: 8E198219
	v_mov_b32_e32 v20, v0                                      // 000000002E24: 7E280300
	v_lshlrev_b32_e32 v20, 2, v20                              // 000000002E28: 24282882
	v_add_u32_e64 v20, v20, s25                                // 000000002E2C: D1340014 00003314
	v_add_u32_e32 v21, 0x100, v20                              // 000000002E34: 682A28FF 00000100
	ds_write_b32 v20, v18                                      // 000000002E3C: D81A0000 00001214
	ds_write_b32 v21, v19                                      // 000000002E44: D81A0000 00001315
	s_barrier                                                  // 000000002E4C: BF8A0000
	v_lshrrev_b32_e32 v20, 4, v0                               // 000000002E50: 20280084
	v_and_b32_e64 v21, v20, 1                                  // 000000002E54: D1130015 00010314
	v_lshrrev_b32_e32 v22, 1, v20                              // 000000002E5C: 202C2881
	v_lshlrev_b32_e32 v20, 1, v21                              // 000000002E60: 24282A81
	v_add_u32_e32 v20, v20, v22                                // 000000002E64: 68282D14
	v_lshlrev_b32_e32 v20, 7, v20                              // 000000002E68: 24282887
	v_and_b32_e64 v21, v0, 15                                  // 000000002E6C: D1130015 00011F00
	v_lshlrev_b32_e32 v21, 2, v21                              // 000000002E74: 242A2A82
	v_add_u32_e32 v20, v21, v20                                // 000000002E78: 68282915
	v_add_u32_e64 v20, v20, s25                                // 000000002E7C: D1340014 00003314
	v_add_u32_e32 v21, 64, v20                                 // 000000002E84: 682A28C0
	ds_read_b32 v18, v20                                       // 000000002E88: D86C0000 12000014
	ds_read_b32 v19, v21                                       // 000000002E90: D86C0000 13000015
	s_barrier                                                  // 000000002E98: BF8A0000
	s_nop 1                                                    // 000000002E9C: BF800001
	s_mul_i32 s25, s11, 3                                      // 000000002EA0: 9219830B
	s_lshl_b32 s25, s25, 2                                     // 000000002EA4: 8E198219
	s_lshl_b32 s26, 1, 7                                       // 000000002EA8: 8E1A8781
	v_add_u32_e32 v7, s25, v6                                  // 000000002EAC: 680E0C19
	v_add_u32_e32 v7, s26, v7                                  // 000000002EB0: 680E0E1A
	s_mov_b64 exec, s[32:33]                                   // 000000002EB4: BEFE0120
	buffer_store_dword v18, v7, s[16:19], 0 offen              // 000000002EB8: E0701000 80041207
	v_add_u32_e32 v7, s11, v7                                  // 000000002EC0: 680E0E0B
	buffer_store_dword v19, v7, s[16:19], 0 offen              // 000000002EC4: E0701000 80041307
	s_mov_b64 exec, -1                                         // 000000002ECC: BEFE01C1
	s_waitcnt vmcnt(0) expcnt(0) lgkmcnt(0)                    // 000000002ED0: BF8C0000
	s_endpgm                                                   // 000000002ED4: BF810000
